;; amdgpu-corpus repo=ROCm/AMDMIGraphX kind=compiled arch=gfx906 opt=O3
	.text
	.amdgcn_target "amdgcn-amd-amdhsa--gfx906"
	.amdhsa_code_object_version 6
	.protected	roialign_f32            ; -- Begin function roialign_f32
	.globl	roialign_f32
	.p2align	8
	.type	roialign_f32,@function
roialign_f32:                           ; @roialign_f32
; %bb.0:
	s_load_dword s0, s[4:5], 0x2c
	s_waitcnt lgkmcnt(0)
	s_and_b32 s0, s0, 0xffff
	s_mul_i32 s6, s6, s0
	v_add_u32_e32 v4, s6, v0
	s_movk_i32 s0, 0x320
	v_cmp_gt_u32_e32 vcc, s0, v4
	s_and_saveexec_b64 s[0:1], vcc
	s_cbranch_execz .LBB0_18
; %bb.1:
	s_mov_b32 s0, 0xcccd
	v_mul_u32_u24_sdwa v0, v4, s0 dst_sel:DWORD dst_unused:UNUSED_PAD src0_sel:WORD_0 src1_sel:DWORD
	s_load_dwordx8 s[4:11], s[4:5], 0x0
	v_lshrrev_b32_e32 v5, 18, v0
	s_movk_i32 s0, 0xcd
	v_mul_lo_u16_sdwa v6, v5, s0 dst_sel:DWORD dst_unused:UNUSED_PAD src0_sel:BYTE_0 src1_sel:DWORD
	v_lshrrev_b16_e32 v7, 12, v6
	v_lshlrev_b16_e32 v0, 2, v7
	v_lshlrev_b32_e32 v0, 2, v0
	s_waitcnt lgkmcnt(0)
	global_load_dwordx4 v[0:3], v0, s[6:7]
	v_lshlrev_b32_e32 v7, 3, v7
	global_load_dword v7, v7, s[8:9]
	s_mov_b32 s2, 0x40a00000
	s_mov_b32 s8, 0x41800000
	s_waitcnt vmcnt(1)
	v_sub_f32_e32 v3, v3, v1
	v_sub_f32_e32 v2, v2, v0
	v_max_f32_e32 v8, 1.0, v3
	v_max_f32_e32 v9, 1.0, v2
	v_div_scale_f32 v2, s[0:1], s2, s2, v8
	v_div_scale_f32 v3, s[0:1], s2, s2, v9
	v_div_scale_f32 v10, vcc, v8, s2, v8
	v_div_scale_f32 v11, s[0:1], v9, s2, v9
	v_rcp_f32_e32 v12, v2
	v_rcp_f32_e32 v13, v3
	v_fma_f32 v14, -v2, v12, 1.0
	v_fmac_f32_e32 v12, v14, v12
	v_fma_f32 v15, -v3, v13, 1.0
	v_fmac_f32_e32 v13, v15, v13
	v_mul_f32_e32 v14, v10, v12
	v_mul_f32_e32 v15, v11, v13
	v_fma_f32 v16, -v2, v14, v10
	v_fma_f32 v17, -v3, v15, v11
	v_fmac_f32_e32 v14, v16, v12
	v_fmac_f32_e32 v15, v17, v13
	v_fma_f32 v2, -v2, v14, v10
	v_fma_f32 v3, -v3, v15, v11
	v_div_fmas_f32 v10, v2, v12, v14
	s_mov_b64 vcc, s[0:1]
	v_div_fmas_f32 v11, v3, v13, v15
	v_mul_lo_u16_e32 v12, 5, v5
	v_lshrrev_b16_e32 v13, 10, v6
	v_lshrrev_b16_e32 v6, 6, v6
	v_sub_u16_e32 v12, v4, v12
	v_mov_b32_e32 v2, 4
	v_and_b32_e32 v6, 48, v6
	v_mul_lo_u16_e32 v13, 5, v13
	v_cvt_f32_u32_e32 v12, v12
	v_lshlrev_b32_sdwa v2, v2, v6 dst_sel:DWORD dst_unused:UNUSED_PAD src0_sel:DWORD src1_sel:WORD_0
	v_sub_u16_e32 v5, v5, v13
	v_cvt_f32_ubyte0_e32 v6, v5
	s_waitcnt vmcnt(0)
	v_lshl_or_b32 v2, v7, 10, v2
	v_mov_b32_e32 v3, 0
	v_div_fixup_f32 v7, v10, s2, v8
	v_fmac_f32_e32 v1, v7, v6
	v_div_fixup_f32 v5, v11, s2, v9
	v_mul_f32_e32 v8, 0.5, v7
	v_fma_f32 v6, v5, v12, v0
	v_fma_f32 v0, 0.5, v8, v1
	v_add_f32_e32 v9, 0, v0
	v_cmp_ngt_f32_e32 vcc, -1.0, v9
	v_cmp_nlt_f32_e64 s[0:1], s8, v9
	v_mul_f32_e32 v8, 0.5, v5
	s_and_b64 s[0:1], vcc, s[0:1]
	v_mov_b32_e32 v0, 0
	s_and_saveexec_b64 s[2:3], s[0:1]
	s_cbranch_execz .LBB0_5
; %bb.2:
	v_fma_f32 v0, 0.5, v8, v6
	v_add_f32_e32 v10, 0, v0
	v_cmp_ngt_f32_e32 vcc, -1.0, v10
	v_cmp_nlt_f32_e64 s[0:1], s8, v10
	s_and_b64 s[0:1], vcc, s[0:1]
	v_mov_b32_e32 v0, 0
	s_and_saveexec_b64 s[6:7], s[0:1]
	s_cbranch_execz .LBB0_4
; %bb.3:
	v_max_f32_e32 v0, v9, v9
	v_max_f32_e32 v0, 0, v0
	;; [unrolled: 1-line block ×3, first 2 shown]
	v_cvt_i32_f32_e32 v11, v0
	v_max_f32_e32 v16, 0, v10
	v_cvt_i32_f32_e32 v18, v16
	v_mov_b32_e32 v12, 0x41700000
	v_cmp_gt_u32_e32 vcc, 15, v11
	v_lshl_add_u32 v10, v11, 4, 16
	v_min_u32_e32 v17, 15, v11
	v_cndmask_b32_e32 v0, v12, v0, vcc
	v_add_u32_e32 v11, 1, v18
	v_min_u32_e32 v12, 15, v18
	v_cmp_gt_u32_e64 s[0:1], 15, v18
	v_cndmask_b32_e64 v14, 15, v11, s[0:1]
	v_lshlrev_b32_e32 v15, 4, v17
	v_mov_b32_e32 v11, 0xf0
	v_or_b32_e32 v20, v12, v2
	v_cndmask_b32_e32 v19, v11, v10, vcc
	v_or_b32_e32 v10, v20, v15
	v_mov_b32_e32 v11, 0
	v_lshlrev_b64 v[12:13], 2, v[10:11]
	v_mov_b32_e32 v10, s5
	v_add_co_u32_e32 v12, vcc, s4, v12
	v_add_u32_e32 v21, v14, v2
	v_addc_co_u32_e32 v13, vcc, v10, v13, vcc
	v_add_u32_e32 v10, v21, v15
	v_lshlrev_b64 v[14:15], 2, v[10:11]
	v_mov_b32_e32 v10, s5
	v_add_co_u32_e32 v14, vcc, s4, v14
	v_addc_co_u32_e32 v15, vcc, v10, v15, vcc
	v_add_u32_e32 v10, v19, v20
	global_load_dword v22, v[12:13], off
	global_load_dword v23, v[14:15], off
	v_lshlrev_b64 v[12:13], 2, v[10:11]
	v_mov_b32_e32 v10, s5
	v_add_co_u32_e32 v12, vcc, s4, v12
	v_addc_co_u32_e32 v13, vcc, v10, v13, vcc
	v_add_u32_e32 v10, v21, v19
	v_lshlrev_b64 v[10:11], 2, v[10:11]
	v_mov_b32_e32 v14, s5
	v_add_co_u32_e32 v10, vcc, s4, v10
	v_addc_co_u32_e32 v11, vcc, v14, v11, vcc
	global_load_dword v14, v[10:11], off
	global_load_dword v15, v[12:13], off
	v_cvt_f32_i32_e32 v10, v18
	v_cvt_f32_ubyte0_e32 v11, v17
	v_sub_f32_e32 v0, v0, v11
	v_sub_f32_e32 v11, 1.0, v0
	v_sub_f32_e32 v10, v16, v10
	v_cndmask_b32_e64 v10, 0, v10, s[0:1]
	v_sub_f32_e32 v12, 1.0, v10
	v_mul_f32_e32 v13, v11, v12
	v_mul_f32_e32 v11, v10, v11
	;; [unrolled: 1-line block ×4, first 2 shown]
	s_waitcnt vmcnt(2)
	v_mul_f32_e32 v10, v11, v23
	v_fmac_f32_e32 v10, v13, v22
	s_waitcnt vmcnt(1)
	v_mul_f32_e32 v0, v0, v14
	s_waitcnt vmcnt(0)
	v_fmac_f32_e32 v0, v12, v15
	v_add_f32_e32 v0, v10, v0
	v_add_f32_e32 v0, 0, v0
.LBB0_4:
	s_or_b64 exec, exec, s[6:7]
.LBB0_5:
	s_or_b64 exec, exec, s[2:3]
	v_cmp_ngt_f32_e32 vcc, -1.0, v9
	v_cmp_nlt_f32_e64 s[0:1], s8, v9
	s_and_b64 s[0:1], vcc, s[0:1]
	s_and_saveexec_b64 s[2:3], s[0:1]
	s_cbranch_execz .LBB0_9
; %bb.6:
	v_mul_f32_e32 v3, 0x3fc00000, v5
	v_fma_f32 v3, 0.5, v3, v6
	v_add_f32_e32 v10, 0, v3
	s_mov_b32 s0, 0x41800000
	v_cmp_ngt_f32_e32 vcc, -1.0, v10
	v_cmp_nlt_f32_e64 s[0:1], s0, v10
	s_and_b64 s[0:1], vcc, s[0:1]
	v_mov_b32_e32 v3, 0
	s_and_saveexec_b64 s[6:7], s[0:1]
	s_cbranch_execz .LBB0_8
; %bb.7:
	v_max_f32_e32 v3, v9, v9
	v_max_f32_e32 v3, 0, v3
	;; [unrolled: 1-line block ×3, first 2 shown]
	v_cvt_i32_f32_e32 v9, v3
	v_max_f32_e32 v15, 0, v10
	v_cvt_i32_f32_e32 v17, v15
	v_mov_b32_e32 v11, 0x41700000
	v_cmp_gt_u32_e32 vcc, 15, v9
	v_lshl_add_u32 v10, v9, 4, 16
	v_min_u32_e32 v16, 15, v9
	v_cndmask_b32_e32 v3, v11, v3, vcc
	v_add_u32_e32 v9, 1, v17
	v_min_u32_e32 v11, 15, v17
	v_cmp_gt_u32_e64 s[0:1], 15, v17
	v_cndmask_b32_e64 v13, 15, v9, s[0:1]
	v_lshlrev_b32_e32 v14, 4, v16
	v_mov_b32_e32 v9, 0xf0
	v_or_b32_e32 v19, v11, v2
	v_cndmask_b32_e32 v18, v9, v10, vcc
	v_or_b32_e32 v9, v19, v14
	v_mov_b32_e32 v10, 0
	v_lshlrev_b64 v[11:12], 2, v[9:10]
	v_mov_b32_e32 v9, s5
	v_add_co_u32_e32 v11, vcc, s4, v11
	v_add_u32_e32 v20, v13, v2
	v_addc_co_u32_e32 v12, vcc, v9, v12, vcc
	v_add_u32_e32 v9, v20, v14
	v_lshlrev_b64 v[13:14], 2, v[9:10]
	v_mov_b32_e32 v9, s5
	v_add_co_u32_e32 v13, vcc, s4, v13
	v_addc_co_u32_e32 v14, vcc, v9, v14, vcc
	v_add_u32_e32 v9, v18, v19
	global_load_dword v21, v[11:12], off
	global_load_dword v22, v[13:14], off
	v_lshlrev_b64 v[11:12], 2, v[9:10]
	v_mov_b32_e32 v9, s5
	v_add_co_u32_e32 v11, vcc, s4, v11
	v_addc_co_u32_e32 v12, vcc, v9, v12, vcc
	v_add_u32_e32 v9, v20, v18
	v_lshlrev_b64 v[9:10], 2, v[9:10]
	v_mov_b32_e32 v13, s5
	v_add_co_u32_e32 v9, vcc, s4, v9
	v_addc_co_u32_e32 v10, vcc, v13, v10, vcc
	global_load_dword v13, v[9:10], off
	global_load_dword v14, v[11:12], off
	v_cvt_f32_i32_e32 v9, v17
	v_cvt_f32_ubyte0_e32 v10, v16
	v_sub_f32_e32 v3, v3, v10
	v_sub_f32_e32 v10, 1.0, v3
	v_sub_f32_e32 v9, v15, v9
	v_cndmask_b32_e64 v9, 0, v9, s[0:1]
	v_sub_f32_e32 v11, 1.0, v9
	v_mul_f32_e32 v12, v10, v11
	v_mul_f32_e32 v10, v9, v10
	;; [unrolled: 1-line block ×4, first 2 shown]
	s_waitcnt vmcnt(2)
	v_mul_f32_e32 v9, v10, v22
	v_fmac_f32_e32 v9, v12, v21
	s_waitcnt vmcnt(1)
	v_mul_f32_e32 v3, v3, v13
	s_waitcnt vmcnt(0)
	v_fmac_f32_e32 v3, v11, v14
	v_add_f32_e32 v3, v9, v3
.LBB0_8:
	s_or_b64 exec, exec, s[6:7]
.LBB0_9:
	s_or_b64 exec, exec, s[2:3]
	v_mul_f32_e32 v9, 0x3fc00000, v7
	v_fma_f32 v9, 0.5, v9, v1
	v_add_f32_e32 v11, 0, v9
	v_cmp_ngt_f32_e32 vcc, -1.0, v11
	v_cmp_nlt_f32_e64 s[0:1], s8, v11
	s_and_b64 s[0:1], vcc, s[0:1]
	v_mov_b32_e32 v10, 0
	v_mov_b32_e32 v9, 0
	s_and_saveexec_b64 s[2:3], s[0:1]
	s_cbranch_execz .LBB0_13
; %bb.10:
	v_fma_f32 v8, 0.5, v8, v6
	v_add_f32_e32 v8, 0, v8
	v_cmp_ngt_f32_e32 vcc, -1.0, v8
	v_cmp_nlt_f32_e64 s[0:1], s8, v8
	s_and_b64 s[0:1], vcc, s[0:1]
	v_mov_b32_e32 v9, 0
	s_and_saveexec_b64 s[6:7], s[0:1]
	s_cbranch_execz .LBB0_12
; %bb.11:
	v_max_f32_e32 v9, v11, v11
	v_max_f32_e32 v9, 0, v9
	;; [unrolled: 1-line block ×3, first 2 shown]
	v_cvt_i32_f32_e32 v11, v9
	v_max_f32_e32 v15, 0, v8
	v_cvt_i32_f32_e32 v17, v15
	v_mov_b32_e32 v12, 0x41700000
	v_cmp_gt_u32_e32 vcc, 15, v11
	v_lshl_add_u32 v8, v11, 4, 16
	v_min_u32_e32 v16, 15, v11
	v_cndmask_b32_e32 v18, v12, v9, vcc
	v_add_u32_e32 v9, 1, v17
	v_min_u32_e32 v11, 15, v17
	v_cmp_gt_u32_e64 s[0:1], 15, v17
	v_cndmask_b32_e64 v13, 15, v9, s[0:1]
	v_lshlrev_b32_e32 v14, 4, v16
	v_mov_b32_e32 v9, 0xf0
	v_or_b32_e32 v20, v11, v2
	v_cndmask_b32_e32 v19, v9, v8, vcc
	v_or_b32_e32 v8, v20, v14
	v_mov_b32_e32 v9, 0
	v_lshlrev_b64 v[11:12], 2, v[8:9]
	v_mov_b32_e32 v8, s5
	v_add_co_u32_e32 v11, vcc, s4, v11
	v_add_u32_e32 v21, v13, v2
	v_addc_co_u32_e32 v12, vcc, v8, v12, vcc
	v_add_u32_e32 v8, v21, v14
	v_lshlrev_b64 v[13:14], 2, v[8:9]
	v_mov_b32_e32 v8, s5
	v_add_co_u32_e32 v13, vcc, s4, v13
	v_addc_co_u32_e32 v14, vcc, v8, v14, vcc
	v_add_u32_e32 v8, v19, v20
	global_load_dword v22, v[11:12], off
	global_load_dword v23, v[13:14], off
	v_lshlrev_b64 v[11:12], 2, v[8:9]
	v_mov_b32_e32 v8, s5
	v_add_co_u32_e32 v11, vcc, s4, v11
	v_addc_co_u32_e32 v12, vcc, v8, v12, vcc
	v_add_u32_e32 v8, v21, v19
	v_lshlrev_b64 v[8:9], 2, v[8:9]
	v_mov_b32_e32 v13, s5
	v_add_co_u32_e32 v8, vcc, s4, v8
	v_addc_co_u32_e32 v9, vcc, v13, v9, vcc
	global_load_dword v13, v[8:9], off
	global_load_dword v14, v[11:12], off
	v_cvt_f32_i32_e32 v8, v17
	v_cvt_f32_ubyte0_e32 v9, v16
	v_sub_f32_e32 v9, v18, v9
	v_sub_f32_e32 v11, 1.0, v9
	v_sub_f32_e32 v8, v15, v8
	v_cndmask_b32_e64 v8, 0, v8, s[0:1]
	v_sub_f32_e32 v12, 1.0, v8
	v_mul_f32_e32 v15, v11, v12
	v_mul_f32_e32 v11, v8, v11
	;; [unrolled: 1-line block ×4, first 2 shown]
	s_waitcnt vmcnt(2)
	v_mul_f32_e32 v9, v11, v23
	v_fmac_f32_e32 v9, v15, v22
	s_waitcnt vmcnt(1)
	v_mul_f32_e32 v8, v8, v13
	s_waitcnt vmcnt(0)
	v_fmac_f32_e32 v8, v12, v14
	v_add_f32_e32 v9, v9, v8
.LBB0_12:
	s_or_b64 exec, exec, s[6:7]
.LBB0_13:
	s_or_b64 exec, exec, s[2:3]
	v_mul_f32_e32 v7, 0x3fc00000, v7
	v_fmac_f32_e32 v1, 0.5, v7
	v_add_f32_e32 v1, 0, v1
	v_cmp_ngt_f32_e32 vcc, -1.0, v1
	v_cmp_nlt_f32_e64 s[0:1], s8, v1
	s_and_b64 s[0:1], vcc, s[0:1]
	s_and_saveexec_b64 s[2:3], s[0:1]
	s_cbranch_execz .LBB0_17
; %bb.14:
	v_mul_f32_e32 v5, 0x3fc00000, v5
	v_fmac_f32_e32 v6, 0.5, v5
	v_add_f32_e32 v5, 0, v6
	s_mov_b32 s0, 0x41800000
	v_cmp_ngt_f32_e32 vcc, -1.0, v5
	v_cmp_nlt_f32_e64 s[0:1], s0, v5
	s_and_b64 s[0:1], vcc, s[0:1]
	v_mov_b32_e32 v10, 0
	s_and_saveexec_b64 s[6:7], s[0:1]
	s_cbranch_execz .LBB0_16
; %bb.15:
	v_max_f32_e32 v1, v1, v1
	v_max_f32_e32 v5, v5, v5
	v_max_f32_e32 v1, 0, v1
	v_max_f32_e32 v10, 0, v5
	v_cvt_i32_f32_e32 v6, v1
	v_cvt_i32_f32_e32 v12, v10
	v_mov_b32_e32 v7, 0x41700000
	v_lshl_add_u32 v5, v6, 4, 16
	v_min_u32_e32 v11, 15, v6
	v_cmp_gt_u32_e32 vcc, 15, v6
	v_min_u32_e32 v6, 15, v12
	v_cndmask_b32_e32 v13, v7, v1, vcc
	v_lshlrev_b32_e32 v14, 4, v11
	v_mov_b32_e32 v7, 0xf0
	v_or_b32_e32 v16, v6, v2
	v_cndmask_b32_e32 v15, v7, v5, vcc
	v_or_b32_e32 v5, v16, v14
	v_mov_b32_e32 v6, 0
	v_add_u32_e32 v1, 1, v12
	v_cmp_gt_u32_e64 s[0:1], 15, v12
	v_lshlrev_b64 v[7:8], 2, v[5:6]
	v_cndmask_b32_e64 v1, 15, v1, s[0:1]
	v_mov_b32_e32 v5, s5
	v_add_co_u32_e32 v7, vcc, s4, v7
	v_add_u32_e32 v17, v1, v2
	v_addc_co_u32_e32 v8, vcc, v5, v8, vcc
	v_add_u32_e32 v5, v17, v14
	v_lshlrev_b64 v[1:2], 2, v[5:6]
	v_mov_b32_e32 v5, s5
	v_add_co_u32_e32 v1, vcc, s4, v1
	v_addc_co_u32_e32 v2, vcc, v5, v2, vcc
	v_add_u32_e32 v5, v15, v16
	global_load_dword v14, v[7:8], off
	global_load_dword v18, v[1:2], off
	v_lshlrev_b64 v[1:2], 2, v[5:6]
	v_mov_b32_e32 v5, s5
	v_add_co_u32_e32 v1, vcc, s4, v1
	v_addc_co_u32_e32 v2, vcc, v5, v2, vcc
	v_add_u32_e32 v5, v17, v15
	v_lshlrev_b64 v[5:6], 2, v[5:6]
	v_mov_b32_e32 v7, s5
	v_add_co_u32_e32 v5, vcc, s4, v5
	v_addc_co_u32_e32 v6, vcc, v7, v6, vcc
	global_load_dword v7, v[5:6], off
	global_load_dword v8, v[1:2], off
	v_cvt_f32_i32_e32 v1, v12
	v_cvt_f32_ubyte0_e32 v2, v11
	v_sub_f32_e32 v2, v13, v2
	v_sub_f32_e32 v5, 1.0, v2
	v_sub_f32_e32 v1, v10, v1
	v_cndmask_b32_e64 v1, 0, v1, s[0:1]
	v_sub_f32_e32 v6, 1.0, v1
	v_mul_f32_e32 v10, v5, v6
	v_mul_f32_e32 v5, v1, v5
	;; [unrolled: 1-line block ×4, first 2 shown]
	s_waitcnt vmcnt(2)
	v_mul_f32_e32 v2, v5, v18
	v_fmac_f32_e32 v2, v10, v14
	s_waitcnt vmcnt(1)
	v_mul_f32_e32 v1, v1, v7
	s_waitcnt vmcnt(0)
	v_fmac_f32_e32 v1, v6, v8
	v_add_f32_e32 v10, v2, v1
.LBB0_16:
	s_or_b64 exec, exec, s[6:7]
.LBB0_17:
	s_or_b64 exec, exec, s[2:3]
	v_add_f32_e32 v0, v0, v3
	v_add_f32_e32 v0, v0, v9
	;; [unrolled: 1-line block ×3, first 2 shown]
	v_mov_b32_e32 v5, 0
	v_mul_f32_e32 v2, 0x3e800000, v0
	v_lshlrev_b64 v[0:1], 2, v[4:5]
	v_mov_b32_e32 v3, s11
	v_add_co_u32_e32 v0, vcc, s10, v0
	v_addc_co_u32_e32 v1, vcc, v3, v1, vcc
	global_store_dword v[0:1], v2, off
.LBB0_18:
	s_endpgm
	.section	.rodata,"a",@progbits
	.p2align	6, 0x0
	.amdhsa_kernel roialign_f32
		.amdhsa_group_segment_fixed_size 0
		.amdhsa_private_segment_fixed_size 0
		.amdhsa_kernarg_size 288
		.amdhsa_user_sgpr_count 6
		.amdhsa_user_sgpr_private_segment_buffer 1
		.amdhsa_user_sgpr_dispatch_ptr 0
		.amdhsa_user_sgpr_queue_ptr 0
		.amdhsa_user_sgpr_kernarg_segment_ptr 1
		.amdhsa_user_sgpr_dispatch_id 0
		.amdhsa_user_sgpr_flat_scratch_init 0
		.amdhsa_user_sgpr_private_segment_size 0
		.amdhsa_uses_dynamic_stack 0
		.amdhsa_system_sgpr_private_segment_wavefront_offset 0
		.amdhsa_system_sgpr_workgroup_id_x 1
		.amdhsa_system_sgpr_workgroup_id_y 0
		.amdhsa_system_sgpr_workgroup_id_z 0
		.amdhsa_system_sgpr_workgroup_info 0
		.amdhsa_system_vgpr_workitem_id 0
		.amdhsa_next_free_vgpr 24
		.amdhsa_next_free_sgpr 12
		.amdhsa_reserve_vcc 1
		.amdhsa_reserve_flat_scratch 0
		.amdhsa_float_round_mode_32 0
		.amdhsa_float_round_mode_16_64 0
		.amdhsa_float_denorm_mode_32 3
		.amdhsa_float_denorm_mode_16_64 3
		.amdhsa_dx10_clamp 1
		.amdhsa_ieee_mode 1
		.amdhsa_fp16_overflow 0
		.amdhsa_exception_fp_ieee_invalid_op 0
		.amdhsa_exception_fp_denorm_src 0
		.amdhsa_exception_fp_ieee_div_zero 0
		.amdhsa_exception_fp_ieee_overflow 0
		.amdhsa_exception_fp_ieee_underflow 0
		.amdhsa_exception_fp_ieee_inexact 0
		.amdhsa_exception_int_div_zero 0
	.end_amdhsa_kernel
	.text
.Lfunc_end0:
	.size	roialign_f32, .Lfunc_end0-roialign_f32
                                        ; -- End function
	.section	.AMDGPU.csdata,"",@progbits
; Kernel info:
; codeLenInByte = 2072
; NumSgprs: 16
; NumVgprs: 24
; ScratchSize: 0
; MemoryBound: 0
; FloatMode: 240
; IeeeMode: 1
; LDSByteSize: 0 bytes/workgroup (compile time only)
; SGPRBlocks: 1
; VGPRBlocks: 5
; NumSGPRsForWavesPerEU: 16
; NumVGPRsForWavesPerEU: 24
; Occupancy: 8
; WaveLimiterHint : 1
; COMPUTE_PGM_RSRC2:SCRATCH_EN: 0
; COMPUTE_PGM_RSRC2:USER_SGPR: 6
; COMPUTE_PGM_RSRC2:TRAP_HANDLER: 0
; COMPUTE_PGM_RSRC2:TGID_X_EN: 1
; COMPUTE_PGM_RSRC2:TGID_Y_EN: 0
; COMPUTE_PGM_RSRC2:TGID_Z_EN: 0
; COMPUTE_PGM_RSRC2:TIDIG_COMP_CNT: 0
	.type	__hip_cuid_243bfb971272474b,@object ; @__hip_cuid_243bfb971272474b
	.section	.bss,"aw",@nobits
	.globl	__hip_cuid_243bfb971272474b
__hip_cuid_243bfb971272474b:
	.byte	0                               ; 0x0
	.size	__hip_cuid_243bfb971272474b, 1

	.ident	"AMD clang version 19.0.0git (https://github.com/RadeonOpenCompute/llvm-project roc-6.4.0 25133 c7fe45cf4b819c5991fe208aaa96edf142730f1d)"
	.section	".note.GNU-stack","",@progbits
	.addrsig
	.addrsig_sym __hip_cuid_243bfb971272474b
	.amdgpu_metadata
---
amdhsa.kernels:
  - .args:
      - .address_space:  global
        .offset:         0
        .size:           8
        .value_kind:     global_buffer
      - .address_space:  global
        .offset:         8
        .size:           8
        .value_kind:     global_buffer
      - .address_space:  global
        .offset:         16
        .size:           8
        .value_kind:     global_buffer
      - .address_space:  global
        .offset:         24
        .size:           8
        .value_kind:     global_buffer
      - .offset:         32
        .size:           4
        .value_kind:     hidden_block_count_x
      - .offset:         36
        .size:           4
        .value_kind:     hidden_block_count_y
      - .offset:         40
        .size:           4
        .value_kind:     hidden_block_count_z
      - .offset:         44
        .size:           2
        .value_kind:     hidden_group_size_x
      - .offset:         46
        .size:           2
        .value_kind:     hidden_group_size_y
      - .offset:         48
        .size:           2
        .value_kind:     hidden_group_size_z
      - .offset:         50
        .size:           2
        .value_kind:     hidden_remainder_x
      - .offset:         52
        .size:           2
        .value_kind:     hidden_remainder_y
      - .offset:         54
        .size:           2
        .value_kind:     hidden_remainder_z
      - .offset:         72
        .size:           8
        .value_kind:     hidden_global_offset_x
      - .offset:         80
        .size:           8
        .value_kind:     hidden_global_offset_y
      - .offset:         88
        .size:           8
        .value_kind:     hidden_global_offset_z
      - .offset:         96
        .size:           2
        .value_kind:     hidden_grid_dims
    .group_segment_fixed_size: 0
    .kernarg_segment_align: 8
    .kernarg_segment_size: 288
    .language:       OpenCL C
    .language_version:
      - 2
      - 0
    .max_flat_workgroup_size: 1024
    .name:           roialign_f32
    .private_segment_fixed_size: 0
    .sgpr_count:     16
    .sgpr_spill_count: 0
    .symbol:         roialign_f32.kd
    .uniform_work_group_size: 1
    .uses_dynamic_stack: false
    .vgpr_count:     24
    .vgpr_spill_count: 0
    .wavefront_size: 64
amdhsa.target:   amdgcn-amd-amdhsa--gfx906
amdhsa.version:
  - 1
  - 2
...

	.end_amdgpu_metadata
